;; amdgpu-corpus repo=tuanlda78202/gpt-oss-amd kind=compiled arch=gfx1250 opt=O3
	.amdgcn_target "amdgcn-amd-amdhsa--gfx1250"
	.amdhsa_code_object_version 6
	.text
	.protected	_Z14softmax_kernelPfii  ; -- Begin function _Z14softmax_kernelPfii
	.globl	_Z14softmax_kernelPfii
	.p2align	8
	.type	_Z14softmax_kernelPfii,@function
_Z14softmax_kernelPfii:                 ; @_Z14softmax_kernelPfii
; %bb.0:
	s_load_b64 s[4:5], s[0:1], 0x8
	s_bfe_u32 s2, ttmp6, 0x4000c
	s_and_b32 s3, ttmp6, 15
	s_add_co_i32 s2, s2, 1
	s_getreg_b32 s6, hwreg(HW_REG_IB_STS2, 6, 4)
	s_mul_i32 s2, ttmp9, s2
	s_delay_alu instid0(SALU_CYCLE_1)
	s_add_co_i32 s3, s3, s2
	s_cmp_eq_u32 s6, 0
	s_cselect_b32 s2, ttmp9, s3
	s_wait_kmcnt 0x0
	s_cmp_ge_i32 s2, s4
	s_cbranch_scc1 .LBB0_41
; %bb.1:
	s_clause 0x1
	s_load_b32 s3, s[0:1], 0x1c
	s_load_b64 s[6:7], s[0:1], 0x0
	v_cmp_gt_i32_e32 vcc_lo, s5, v0
	v_dual_mov_b32 v3, 0xff7ff023 :: v_dual_lshlrev_b32 v2, 2, v0
	s_mul_i32 s8, s5, s2
	s_delay_alu instid0(SALU_CYCLE_1)
	s_ashr_i32 s9, s8, 31
	s_wait_kmcnt 0x0
	s_and_b32 s12, s3, 0xffff
	s_and_saveexec_b32 s4, vcc_lo
	s_cbranch_execz .LBB0_5
; %bb.2:
	v_dual_mov_b32 v3, 0 :: v_dual_mov_b32 v1, v0
	s_lshl_b64 s[0:1], s[8:9], 2
	s_mov_b32 s3, 0
	s_add_nc_u64 s[0:1], s[6:7], s[0:1]
	s_lshl_b32 s2, s12, 2
	v_add_nc_u64_e32 v[4:5], s[0:1], v[2:3]
	v_mov_b32_e32 v3, 0xff7ff023
	s_mov_b32 s10, s3
.LBB0_3:                                ; =>This Inner Loop Header: Depth=1
	global_load_b32 v6, v[4:5], off
	s_wait_xcnt 0x0
	v_add_nc_u64_e32 v[4:5], s[2:3], v[4:5]
	s_wait_loadcnt 0x0
	v_cmp_lt_f32_e64 s1, v3, v6
	s_delay_alu instid0(VALU_DEP_1) | instskip(NEXT) | instid1(VALU_DEP_1)
	v_dual_add_nc_u32 v1, s12, v1 :: v_dual_cndmask_b32 v3, v3, v6, s1
	v_cmp_le_i32_e64 s0, s5, v1
	s_or_b32 s10, s0, s10
	s_delay_alu instid0(SALU_CYCLE_1)
	s_and_not1_b32 exec_lo, exec_lo, s10
	s_cbranch_execnz .LBB0_3
; %bb.4:
	s_or_b32 exec_lo, exec_lo, s10
.LBB0_5:
	s_delay_alu instid0(SALU_CYCLE_1) | instskip(SKIP_2) | instid1(VALU_DEP_1)
	s_or_b32 exec_lo, exec_lo, s4
	v_mbcnt_lo_u32_b32 v4, -1, 0
	s_mov_b32 s1, exec_lo
	v_or_b32_e32 v1, 32, v4
	s_delay_alu instid0(VALU_DEP_1) | instskip(NEXT) | instid1(VALU_DEP_1)
	v_cmp_gt_i32_e64 s0, 32, v1
	v_cndmask_b32_e64 v1, v4, v1, s0
	s_delay_alu instid0(VALU_DEP_1)
	v_lshlrev_b32_e32 v1, 2, v1
	ds_bpermute_b32 v5, v1, v3
	s_wait_dscnt 0x0
	v_cmpx_ngt_f32_e32 v3, v5
; %bb.6:
	ds_bpermute_b32 v3, v1, v3
; %bb.7:
	s_or_b32 exec_lo, exec_lo, s1
	v_xor_b32_e32 v5, 16, v4
	s_mov_b32 s1, exec_lo
	s_delay_alu instid0(VALU_DEP_1) | instskip(NEXT) | instid1(VALU_DEP_1)
	v_cmp_gt_i32_e64 s0, 32, v5
	v_cndmask_b32_e64 v5, v4, v5, s0
	s_delay_alu instid0(VALU_DEP_1)
	v_lshlrev_b32_e32 v6, 2, v5
	s_wait_dscnt 0x0
	ds_bpermute_b32 v5, v6, v3
	s_wait_dscnt 0x0
	v_cmpx_ngt_f32_e32 v3, v5
; %bb.8:
	ds_bpermute_b32 v3, v6, v3
; %bb.9:
	s_or_b32 exec_lo, exec_lo, s1
	v_xor_b32_e32 v5, 8, v4
	s_mov_b32 s1, exec_lo
	s_delay_alu instid0(VALU_DEP_1) | instskip(NEXT) | instid1(VALU_DEP_1)
	v_cmp_gt_i32_e64 s0, 32, v5
	v_cndmask_b32_e64 v5, v4, v5, s0
	s_delay_alu instid0(VALU_DEP_1)
	v_lshlrev_b32_e32 v7, 2, v5
	s_wait_dscnt 0x0
	;; [unrolled: 15-line block ×5, first 2 shown]
	ds_bpermute_b32 v4, v10, v3
	s_wait_dscnt 0x0
	v_cmpx_ngt_f32_e32 v3, v4
; %bb.16:
	ds_bpermute_b32 v3, v10, v3
; %bb.17:
	s_or_b32 exec_lo, exec_lo, s1
	v_dual_lshrrev_b32 v12, 4, v0 :: v_dual_bitop2_b32 v4, 63, v0 bitop3:0x40
	s_delay_alu instid0(VALU_DEP_1)
	v_cmp_eq_u32_e64 s1, 0, v4
	s_and_saveexec_b32 s0, s1
	s_cbranch_execz .LBB0_19
; %bb.18:
	s_wait_dscnt 0x0
	ds_store_b32 v12, v3
.LBB0_19:
	s_or_b32 exec_lo, exec_lo, s0
	s_lshr_b32 s0, s12, 6
	s_wait_dscnt 0x0
	v_mov_b32_e32 v3, 0xff7ff023
	v_cmp_gt_u32_e64 s0, s0, v0
	v_lshlrev_b32_e32 v11, 2, v4
	s_barrier_signal -1
	s_barrier_wait -1
	s_and_saveexec_b32 s2, s0
	s_cbranch_execnz .LBB0_42
; %bb.20:
	s_or_b32 exec_lo, exec_lo, s2
	v_cmp_gt_u32_e64 s2, 64, v0
	s_and_saveexec_b32 s4, s2
	s_cbranch_execnz .LBB0_43
.LBB0_21:
	s_or_b32 exec_lo, exec_lo, s4
	v_cmp_eq_u32_e64 s3, 0, v0
	s_and_saveexec_b32 s4, s3
	s_cbranch_execz .LBB0_23
.LBB0_22:
	v_mov_b32_e32 v4, 0
	s_wait_dscnt 0x0
	ds_store_b32 v4, v3 offset:132
.LBB0_23:
	s_or_b32 exec_lo, exec_lo, s4
	s_wait_dscnt 0x0
	v_mov_b32_e32 v3, 0
	s_barrier_signal -1
	s_barrier_wait -1
	s_and_saveexec_b32 s13, vcc_lo
	s_cbranch_execz .LBB0_27
; %bb.24:
	v_mov_b32_e32 v3, 0
	s_lshl_b64 s[10:11], s[8:9], 2
	s_delay_alu instid0(SALU_CYCLE_1)
	s_add_nc_u64 s[10:11], s[6:7], s[10:11]
	s_delay_alu instid0(VALU_DEP_1) | instid1(SALU_CYCLE_1)
	v_add_nc_u64_e32 v[4:5], s[10:11], v[2:3]
	v_mov_b32_e32 v2, v0
	ds_load_b32 v13, v3 offset:132
	s_mov_b32 s11, 0
	s_lshl_b32 s10, s12, 2
	s_mov_b32 s14, s11
.LBB0_25:                               ; =>This Inner Loop Header: Depth=1
	global_load_b32 v14, v[4:5], off
	s_wait_loadcnt_dscnt 0x0
	v_dual_add_nc_u32 v2, s12, v2 :: v_dual_sub_f32 v14, v14, v13
	s_delay_alu instid0(VALU_DEP_1) | instskip(NEXT) | instid1(VALU_DEP_1)
	v_mul_f32_e32 v15, 0x3fb8aa3b, v14
	v_fma_f32 v16, 0x3fb8aa3b, v14, -v15
	v_rndne_f32_e32 v17, v15
	s_delay_alu instid0(VALU_DEP_1) | instskip(NEXT) | instid1(VALU_DEP_1)
	v_dual_fmac_f32 v16, 0x32a5705f, v14 :: v_dual_sub_f32 v15, v15, v17
	v_add_f32_e32 v15, v15, v16
	v_cvt_i32_f32_e32 v16, v17
	v_cmp_ngt_f32_e64 s4, 0xc2ce8ed0, v14
	s_delay_alu instid0(VALU_DEP_3) | instskip(SKIP_1) | instid1(TRANS32_DEP_1)
	v_exp_f32_e32 v15, v15
	v_nop
	v_ldexp_f32 v15, v15, v16
	s_delay_alu instid0(VALU_DEP_1) | instskip(SKIP_1) | instid1(VALU_DEP_1)
	v_cndmask_b32_e64 v15, 0, v15, s4
	v_cmp_nlt_f32_e64 s4, 0x42b17218, v14
	v_cndmask_b32_e64 v14, 0x7f800000, v15, s4
	v_cmp_le_i32_e64 s4, s5, v2
	global_store_b32 v[4:5], v14, off
	s_wait_xcnt 0x0
	v_add_nc_u64_e32 v[4:5], s[10:11], v[4:5]
	v_add_f32_e32 v3, v3, v14
	s_or_b32 s14, s4, s14
	s_delay_alu instid0(SALU_CYCLE_1)
	s_and_not1_b32 exec_lo, exec_lo, s14
	s_cbranch_execnz .LBB0_25
; %bb.26:
	s_or_b32 exec_lo, exec_lo, s14
.LBB0_27:
	s_delay_alu instid0(SALU_CYCLE_1)
	s_or_b32 exec_lo, exec_lo, s13
	ds_bpermute_b32 v2, v1, v3
	s_wait_dscnt 0x0
	v_add_f32_e32 v2, v3, v2
	ds_bpermute_b32 v3, v6, v2
	s_wait_dscnt 0x0
	v_add_f32_e32 v2, v2, v3
	;; [unrolled: 3-line block ×5, first 2 shown]
	ds_bpermute_b32 v3, v10, v2
	s_and_saveexec_b32 s4, s1
	s_cbranch_execz .LBB0_29
; %bb.28:
	s_wait_dscnt 0x0
	v_add_f32_e32 v2, v2, v3
	ds_store_b32 v12, v2 offset:64
.LBB0_29:
	s_or_b32 exec_lo, exec_lo, s4
	v_mov_b32_e32 v2, 0
	s_wait_storecnt_dscnt 0x0
	s_barrier_signal -1
	s_barrier_wait -1
	s_and_saveexec_b32 s1, s0
	s_cbranch_execnz .LBB0_56
; %bb.30:
	s_or_b32 exec_lo, exec_lo, s1
	s_and_saveexec_b32 s0, s2
	s_cbranch_execnz .LBB0_57
.LBB0_31:
	s_or_b32 exec_lo, exec_lo, s0
	s_and_saveexec_b32 s0, s3
	s_cbranch_execz .LBB0_33
.LBB0_32:
	v_mov_b32_e32 v1, 0
	s_wait_dscnt 0x0
	ds_store_b32 v1, v2 offset:128
.LBB0_33:
	s_or_b32 exec_lo, exec_lo, s0
	s_wait_dscnt 0x0
	s_barrier_signal -1
	s_barrier_wait -1
	s_and_saveexec_b32 s0, vcc_lo
	s_cbranch_execz .LBB0_41
; %bb.34:
	v_add_max_i32_e64 v1, v0, 1, s5
	v_mov_b32_e32 v3, 0
	s_and_b32 s0, s12, 0xffff
	s_delay_alu instid0(SALU_CYCLE_1) | instskip(NEXT) | instid1(VALU_DEP_2)
	s_cmp_eq_u32 s0, 1
	v_sub_nc_u32_e32 v1, v1, v0
	ds_load_b32 v4, v3 offset:128
	s_cselect_b32 s0, -1, 0
	v_cmp_lt_u32_e32 vcc_lo, 1, v1
	s_and_b32 s2, vcc_lo, s0
	s_mov_b32 s0, -1
	s_and_saveexec_b32 s1, s2
	s_cbranch_execz .LBB0_38
; %bb.35:
	v_dual_mov_b32 v2, v0 :: v_dual_bitop2_b32 v5, -2, v1 bitop3:0x40
	s_lshl_b64 s[2:3], s[8:9], 2
	s_mov_b32 s4, 0
	s_add_nc_u64 s[2:3], s[6:7], s[2:3]
	s_delay_alu instid0(VALU_DEP_1)
	v_mov_b32_e32 v6, v5
.LBB0_36:                               ; =>This Inner Loop Header: Depth=1
	v_lshl_add_u64 v[8:9], v[2:3], 2, s[2:3]
	v_add_nc_u32_e32 v2, 2, v2
	global_load_b64 v[10:11], v[8:9], off
	s_wait_loadcnt_dscnt 0x0
	v_div_scale_f32 v7, null, v4, v4, v11
	v_div_scale_f32 v12, null, v4, v4, v10
	v_div_scale_f32 v15, vcc_lo, v11, v4, v11
	s_delay_alu instid0(VALU_DEP_3) | instskip(NEXT) | instid1(VALU_DEP_2)
	v_rcp_f32_e32 v13, v7
	v_rcp_f32_e32 v14, v12
	v_div_scale_f32 v18, s0, v10, v4, v10
	s_delay_alu instid0(TRANS32_DEP_2) | instskip(NEXT) | instid1(TRANS32_DEP_1)
	v_fma_f32 v16, -v7, v13, 1.0
	v_fma_f32 v17, -v12, v14, 1.0
	s_delay_alu instid0(VALU_DEP_1) | instskip(NEXT) | instid1(VALU_DEP_1)
	v_dual_fmac_f32 v13, v16, v13 :: v_dual_fmac_f32 v14, v17, v14
	v_dual_mul_f32 v16, v15, v13 :: v_dual_mul_f32 v17, v18, v14
	s_delay_alu instid0(VALU_DEP_1) | instskip(NEXT) | instid1(VALU_DEP_1)
	v_dual_fma_f32 v19, -v7, v16, v15 :: v_dual_fma_f32 v20, -v12, v17, v18
	v_dual_fmac_f32 v16, v19, v13 :: v_dual_fmac_f32 v17, v20, v14
	s_delay_alu instid0(VALU_DEP_1) | instskip(NEXT) | instid1(VALU_DEP_2)
	v_dual_add_nc_u32 v6, -2, v6 :: v_dual_fma_f32 v7, -v7, v16, v15
	v_fma_f32 v12, -v12, v17, v18
	s_delay_alu instid0(VALU_DEP_2) | instskip(SKIP_1) | instid1(VALU_DEP_2)
	v_div_fmas_f32 v7, v7, v13, v16
	s_mov_b32 vcc_lo, s0
	v_div_fmas_f32 v12, v12, v14, v17
	v_cmp_eq_u32_e32 vcc_lo, 0, v6
	s_delay_alu instid0(VALU_DEP_3) | instskip(NEXT) | instid1(VALU_DEP_3)
	v_div_fixup_f32 v11, v7, v4, v11
	v_div_fixup_f32 v10, v12, v4, v10
	s_or_b32 s4, vcc_lo, s4
	global_store_b64 v[8:9], v[10:11], off
	s_wait_xcnt 0x0
	s_and_not1_b32 exec_lo, exec_lo, s4
	s_cbranch_execnz .LBB0_36
; %bb.37:
	s_or_b32 exec_lo, exec_lo, s4
	v_cmp_ne_u32_e32 vcc_lo, v1, v5
	v_add_nc_u32_e32 v0, v0, v5
	s_or_not1_b32 s0, vcc_lo, exec_lo
.LBB0_38:
	s_or_b32 exec_lo, exec_lo, s1
	s_delay_alu instid0(SALU_CYCLE_1)
	s_and_b32 exec_lo, exec_lo, s0
	s_cbranch_execz .LBB0_41
; %bb.39:
	v_mov_b32_e32 v1, 0
	s_lshl_b64 s[0:1], s[8:9], 2
	s_delay_alu instid0(SALU_CYCLE_1)
	s_add_nc_u64 s[0:1], s[6:7], s[0:1]
	s_delay_alu instid0(VALU_DEP_1) | instid1(SALU_CYCLE_1)
	v_lshl_add_u64 v[2:3], v[0:1], 2, s[0:1]
	s_mov_b32 s1, 0
	s_lshl_b32 s0, s12, 2
	s_mov_b32 s2, s1
.LBB0_40:                               ; =>This Inner Loop Header: Depth=1
	global_load_b32 v1, v[2:3], off
	v_add_nc_u32_e32 v0, s12, v0
	s_wait_loadcnt_dscnt 0x0
	v_div_scale_f32 v5, null, v4, v4, v1
	v_div_scale_f32 v8, vcc_lo, v1, v4, v1
	s_delay_alu instid0(VALU_DEP_2) | instskip(SKIP_1) | instid1(TRANS32_DEP_1)
	v_rcp_f32_e32 v6, v5
	v_nop
	v_fma_f32 v7, -v5, v6, 1.0
	s_delay_alu instid0(VALU_DEP_1) | instskip(NEXT) | instid1(VALU_DEP_1)
	v_fmac_f32_e32 v6, v7, v6
	v_mul_f32_e32 v7, v8, v6
	s_delay_alu instid0(VALU_DEP_1) | instskip(NEXT) | instid1(VALU_DEP_1)
	v_fma_f32 v9, -v5, v7, v8
	v_fmac_f32_e32 v7, v9, v6
	s_delay_alu instid0(VALU_DEP_1) | instskip(NEXT) | instid1(VALU_DEP_1)
	v_fma_f32 v5, -v5, v7, v8
	v_div_fmas_f32 v5, v5, v6, v7
	v_cmp_le_i32_e32 vcc_lo, s5, v0
	s_delay_alu instid0(VALU_DEP_2)
	v_div_fixup_f32 v1, v5, v4, v1
	s_or_b32 s2, vcc_lo, s2
	global_store_b32 v[2:3], v1, off
	s_wait_xcnt 0x0
	v_add_nc_u64_e32 v[2:3], s[0:1], v[2:3]
	s_and_not1_b32 exec_lo, exec_lo, s2
	s_cbranch_execnz .LBB0_40
.LBB0_41:
	s_endpgm
.LBB0_42:
	ds_load_b32 v3, v11
	s_or_b32 exec_lo, exec_lo, s2
	v_cmp_gt_u32_e64 s2, 64, v0
	s_and_saveexec_b32 s4, s2
	s_cbranch_execz .LBB0_21
.LBB0_43:
	s_wait_dscnt 0x0
	ds_bpermute_b32 v4, v1, v3
	s_mov_b32 s10, exec_lo
	s_wait_dscnt 0x0
	v_cmpx_ngt_f32_e32 v3, v4
; %bb.44:
	ds_bpermute_b32 v3, v1, v3
; %bb.45:
	s_or_b32 exec_lo, exec_lo, s10
	s_wait_dscnt 0x0
	ds_bpermute_b32 v4, v6, v3
	s_mov_b32 s10, exec_lo
	s_wait_dscnt 0x0
	v_cmpx_ngt_f32_e32 v3, v4
; %bb.46:
	ds_bpermute_b32 v3, v6, v3
; %bb.47:
	s_or_b32 exec_lo, exec_lo, s10
	;; [unrolled: 9-line block ×6, first 2 shown]
	s_delay_alu instid0(SALU_CYCLE_1)
	s_or_b32 exec_lo, exec_lo, s4
	v_cmp_eq_u32_e64 s3, 0, v0
	s_and_saveexec_b32 s4, s3
	s_cbranch_execnz .LBB0_22
	s_branch .LBB0_23
.LBB0_56:
	ds_load_b32 v2, v11 offset:64
	s_or_b32 exec_lo, exec_lo, s1
	s_and_saveexec_b32 s0, s2
	s_cbranch_execz .LBB0_31
.LBB0_57:
	s_wait_dscnt 0x0
	ds_bpermute_b32 v1, v1, v2
	s_wait_dscnt 0x0
	v_add_f32_e32 v1, v2, v1
	ds_bpermute_b32 v2, v6, v1
	s_wait_dscnt 0x0
	v_add_f32_e32 v1, v1, v2
	;; [unrolled: 3-line block ×6, first 2 shown]
	s_or_b32 exec_lo, exec_lo, s0
	s_and_saveexec_b32 s0, s3
	s_cbranch_execnz .LBB0_32
	s_branch .LBB0_33
	.section	.rodata,"a",@progbits
	.p2align	6, 0x0
	.amdhsa_kernel _Z14softmax_kernelPfii
		.amdhsa_group_segment_fixed_size 136
		.amdhsa_private_segment_fixed_size 0
		.amdhsa_kernarg_size 272
		.amdhsa_user_sgpr_count 2
		.amdhsa_user_sgpr_dispatch_ptr 0
		.amdhsa_user_sgpr_queue_ptr 0
		.amdhsa_user_sgpr_kernarg_segment_ptr 1
		.amdhsa_user_sgpr_dispatch_id 0
		.amdhsa_user_sgpr_kernarg_preload_length 0
		.amdhsa_user_sgpr_kernarg_preload_offset 0
		.amdhsa_user_sgpr_private_segment_size 0
		.amdhsa_wavefront_size32 1
		.amdhsa_uses_dynamic_stack 0
		.amdhsa_enable_private_segment 0
		.amdhsa_system_sgpr_workgroup_id_x 1
		.amdhsa_system_sgpr_workgroup_id_y 0
		.amdhsa_system_sgpr_workgroup_id_z 0
		.amdhsa_system_sgpr_workgroup_info 0
		.amdhsa_system_vgpr_workitem_id 0
		.amdhsa_next_free_vgpr 21
		.amdhsa_next_free_sgpr 15
		.amdhsa_named_barrier_count 0
		.amdhsa_reserve_vcc 1
		.amdhsa_float_round_mode_32 0
		.amdhsa_float_round_mode_16_64 0
		.amdhsa_float_denorm_mode_32 3
		.amdhsa_float_denorm_mode_16_64 3
		.amdhsa_fp16_overflow 0
		.amdhsa_memory_ordered 1
		.amdhsa_forward_progress 1
		.amdhsa_inst_pref_size 18
		.amdhsa_round_robin_scheduling 0
		.amdhsa_exception_fp_ieee_invalid_op 0
		.amdhsa_exception_fp_denorm_src 0
		.amdhsa_exception_fp_ieee_div_zero 0
		.amdhsa_exception_fp_ieee_overflow 0
		.amdhsa_exception_fp_ieee_underflow 0
		.amdhsa_exception_fp_ieee_inexact 0
		.amdhsa_exception_int_div_zero 0
	.end_amdhsa_kernel
	.text
.Lfunc_end0:
	.size	_Z14softmax_kernelPfii, .Lfunc_end0-_Z14softmax_kernelPfii
                                        ; -- End function
	.set _Z14softmax_kernelPfii.num_vgpr, 21
	.set _Z14softmax_kernelPfii.num_agpr, 0
	.set _Z14softmax_kernelPfii.numbered_sgpr, 15
	.set _Z14softmax_kernelPfii.num_named_barrier, 0
	.set _Z14softmax_kernelPfii.private_seg_size, 0
	.set _Z14softmax_kernelPfii.uses_vcc, 1
	.set _Z14softmax_kernelPfii.uses_flat_scratch, 0
	.set _Z14softmax_kernelPfii.has_dyn_sized_stack, 0
	.set _Z14softmax_kernelPfii.has_recursion, 0
	.set _Z14softmax_kernelPfii.has_indirect_call, 0
	.section	.AMDGPU.csdata,"",@progbits
; Kernel info:
; codeLenInByte = 2272
; TotalNumSgprs: 17
; NumVgprs: 21
; ScratchSize: 0
; MemoryBound: 0
; FloatMode: 240
; IeeeMode: 1
; LDSByteSize: 136 bytes/workgroup (compile time only)
; SGPRBlocks: 0
; VGPRBlocks: 1
; NumSGPRsForWavesPerEU: 17
; NumVGPRsForWavesPerEU: 21
; NamedBarCnt: 0
; Occupancy: 16
; WaveLimiterHint : 0
; COMPUTE_PGM_RSRC2:SCRATCH_EN: 0
; COMPUTE_PGM_RSRC2:USER_SGPR: 2
; COMPUTE_PGM_RSRC2:TRAP_HANDLER: 0
; COMPUTE_PGM_RSRC2:TGID_X_EN: 1
; COMPUTE_PGM_RSRC2:TGID_Y_EN: 0
; COMPUTE_PGM_RSRC2:TGID_Z_EN: 0
; COMPUTE_PGM_RSRC2:TIDIG_COMP_CNT: 0
	.text
	.p2alignl 7, 3214868480
	.fill 96, 4, 3214868480
	.section	.AMDGPU.gpr_maximums,"",@progbits
	.set amdgpu.max_num_vgpr, 0
	.set amdgpu.max_num_agpr, 0
	.set amdgpu.max_num_sgpr, 0
	.text
	.type	__hip_cuid_e792098583d0e0d8,@object ; @__hip_cuid_e792098583d0e0d8
	.section	.bss,"aw",@nobits
	.globl	__hip_cuid_e792098583d0e0d8
__hip_cuid_e792098583d0e0d8:
	.byte	0                               ; 0x0
	.size	__hip_cuid_e792098583d0e0d8, 1

	.ident	"AMD clang version 22.0.0git (https://github.com/RadeonOpenCompute/llvm-project roc-7.2.4 26084 f58b06dce1f9c15707c5f808fd002e18c2accf7e)"
	.section	".note.GNU-stack","",@progbits
	.addrsig
	.addrsig_sym __hip_cuid_e792098583d0e0d8
	.amdgpu_metadata
---
amdhsa.kernels:
  - .args:
      - .address_space:  global
        .offset:         0
        .size:           8
        .value_kind:     global_buffer
      - .offset:         8
        .size:           4
        .value_kind:     by_value
      - .offset:         12
        .size:           4
        .value_kind:     by_value
      - .offset:         16
        .size:           4
        .value_kind:     hidden_block_count_x
      - .offset:         20
        .size:           4
        .value_kind:     hidden_block_count_y
      - .offset:         24
        .size:           4
        .value_kind:     hidden_block_count_z
      - .offset:         28
        .size:           2
        .value_kind:     hidden_group_size_x
      - .offset:         30
        .size:           2
        .value_kind:     hidden_group_size_y
      - .offset:         32
        .size:           2
        .value_kind:     hidden_group_size_z
      - .offset:         34
        .size:           2
        .value_kind:     hidden_remainder_x
      - .offset:         36
        .size:           2
        .value_kind:     hidden_remainder_y
      - .offset:         38
        .size:           2
        .value_kind:     hidden_remainder_z
      - .offset:         56
        .size:           8
        .value_kind:     hidden_global_offset_x
      - .offset:         64
        .size:           8
        .value_kind:     hidden_global_offset_y
      - .offset:         72
        .size:           8
        .value_kind:     hidden_global_offset_z
      - .offset:         80
        .size:           2
        .value_kind:     hidden_grid_dims
    .group_segment_fixed_size: 136
    .kernarg_segment_align: 8
    .kernarg_segment_size: 272
    .language:       OpenCL C
    .language_version:
      - 2
      - 0
    .max_flat_workgroup_size: 1024
    .name:           _Z14softmax_kernelPfii
    .private_segment_fixed_size: 0
    .sgpr_count:     17
    .sgpr_spill_count: 0
    .symbol:         _Z14softmax_kernelPfii.kd
    .uniform_work_group_size: 1
    .uses_dynamic_stack: false
    .vgpr_count:     21
    .vgpr_spill_count: 0
    .wavefront_size: 32
amdhsa.target:   amdgcn-amd-amdhsa--gfx1250
amdhsa.version:
  - 1
  - 2
...

	.end_amdgpu_metadata
